;; amdgpu-corpus repo=ROCm/rocFFT kind=compiled arch=gfx906 opt=O3
	.text
	.amdgcn_target "amdgcn-amd-amdhsa--gfx906"
	.amdhsa_code_object_version 6
	.protected	fft_rtc_fwd_len17_factors_17_wgs_120_tpt_1_half_op_CI_CI_sbrc_z_xy_unaligned_dirReg ; -- Begin function fft_rtc_fwd_len17_factors_17_wgs_120_tpt_1_half_op_CI_CI_sbrc_z_xy_unaligned_dirReg
	.globl	fft_rtc_fwd_len17_factors_17_wgs_120_tpt_1_half_op_CI_CI_sbrc_z_xy_unaligned_dirReg
	.p2align	8
	.type	fft_rtc_fwd_len17_factors_17_wgs_120_tpt_1_half_op_CI_CI_sbrc_z_xy_unaligned_dirReg,@function
fft_rtc_fwd_len17_factors_17_wgs_120_tpt_1_half_op_CI_CI_sbrc_z_xy_unaligned_dirReg: ; @fft_rtc_fwd_len17_factors_17_wgs_120_tpt_1_half_op_CI_CI_sbrc_z_xy_unaligned_dirReg
; %bb.0:
	s_load_dwordx8 s[8:15], s[4:5], 0x8
	s_waitcnt lgkmcnt(0)
	s_load_dwordx4 s[16:19], s[10:11], 0x8
	s_load_dwordx4 s[20:23], s[12:13], 0x0
	s_load_dword s3, s[12:13], 0x10
	s_waitcnt lgkmcnt(0)
	s_add_i32 s0, s16, -1
	s_mul_hi_u32 s0, s0, 0x88888889
	s_lshr_b32 s0, s0, 6
	s_add_i32 s1, s0, 1
	s_mul_i32 s2, s1, s18
	v_cvt_f32_u32_e32 v2, s2
	v_cvt_f32_u32_e32 v1, s1
	s_sub_i32 s7, 0, s2
	v_rcp_iflag_f32_e32 v2, v2
	v_rcp_iflag_f32_e32 v1, v1
	v_mul_f32_e32 v2, 0x4f7ffffe, v2
	v_cvt_u32_f32_e32 v2, v2
	v_mul_f32_e32 v1, 0x4f7ffffe, v1
	v_cvt_u32_f32_e32 v1, v1
	v_readfirstlane_b32 s11, v2
	s_mul_i32 s7, s7, s11
	s_mul_hi_u32 s7, s11, s7
	s_add_i32 s11, s11, s7
	s_mul_hi_u32 s7, s6, s11
	s_mul_i32 s11, s7, s2
	s_sub_i32 s11, s6, s11
	s_add_i32 s17, s7, 1
	s_sub_i32 s18, s11, s2
	s_cmp_ge_u32 s11, s2
	s_cselect_b32 s7, s17, s7
	s_cselect_b32 s11, s18, s11
	s_add_i32 s17, s7, 1
	s_cmp_ge_u32 s11, s2
	v_readfirstlane_b32 s10, v1
	s_cselect_b32 s17, s17, s7
	s_not_b32 s0, s0
	s_mul_i32 s0, s0, s10
	s_mul_i32 s2, s17, s2
	s_mul_hi_u32 s0, s10, s0
	s_sub_i32 s2, s6, s2
	s_add_i32 s10, s10, s0
	s_mul_hi_u32 s0, s2, s10
	s_mul_i32 s7, s0, s1
	s_sub_i32 s2, s2, s7
	s_add_i32 s11, s0, 1
	s_sub_i32 s7, s2, s1
	s_cmp_ge_u32 s2, s1
	s_cselect_b32 s0, s11, s0
	s_cselect_b32 s2, s7, s2
	s_add_i32 s7, s0, 1
	s_cmp_ge_u32 s2, s1
	s_cselect_b32 s23, s7, s0
	s_mul_hi_u32 s0, s6, s10
	s_mul_i32 s0, s0, s1
	s_sub_i32 s0, s6, s0
	s_sub_i32 s2, s0, s1
	s_cmp_ge_u32 s0, s1
	s_cselect_b32 s0, s2, s0
	s_sub_i32 s2, s0, s1
	s_cmp_ge_u32 s0, s1
	s_cselect_b32 s24, s2, s0
	s_mulk_i32 s24, 0x78
	s_mul_i32 s0, s23, s3
	s_mul_i32 s1, s24, s22
	s_add_i32 s10, s1, s0
	s_lshl_b64 s[0:1], s[8:9], 3
	s_add_u32 s2, s12, s0
	s_addc_u32 s3, s13, s1
	s_load_dwordx2 s[8:9], s[2:3], 0x0
	s_load_dwordx2 s[12:13], s[4:5], 0x58
	;; [unrolled: 1-line block ×3, first 2 shown]
	s_waitcnt lgkmcnt(0)
	s_movk_i32 s7, 0x78
	s_mul_i32 s2, s9, s17
	s_mul_hi_u32 s3, s8, s17
	s_add_i32 s3, s3, s2
	s_mul_i32 s2, s8, s17
	s_add_u32 s18, s2, s10
	s_addc_u32 s19, s3, 0
	s_add_u32 s10, s14, s0
	s_addc_u32 s11, s15, s1
	s_load_dwordx4 s[0:3], s[14:15], 0x0
	s_load_dwordx2 s[8:9], s[10:11], 0x0
	s_waitcnt lgkmcnt(0)
	s_add_i32 s3, s24, 0x78
	s_cmp_le_u32 s3, s16
	s_cselect_b64 s[10:11], -1, 0
	s_mov_b64 s[14:15], -1
	s_and_b64 vcc, exec, s[10:11]
	s_cbranch_vccnz .LBB0_4
; %bb.1:
	s_lshl_b64 s[14:15], s[18:19], 2
	s_add_u32 s3, s12, s14
	s_addc_u32 s26, s13, s15
	s_mov_b64 s[14:15], 0
	s_mov_b32 s25, 0xf0f1
	v_mov_b32_e32 v2, 0
	v_mov_b32_e32 v3, s26
	s_movk_i32 s26, 0x7f7
	v_mov_b32_e32 v4, v0
.LBB0_2:                                ; =>This Inner Loop Header: Depth=1
	v_mul_u32_u24_sdwa v1, v4, s25 dst_sel:DWORD dst_unused:UNUSED_PAD src0_sel:WORD_0 src1_sel:DWORD
	v_lshrrev_b32_e32 v11, 20, v1
	v_mul_lo_u16_e32 v5, 17, v11
	v_sub_u16_e32 v12, v4, v5
	v_mul_lo_u32 v1, s22, v11
	v_mad_u64_u32 v[5:6], s[28:29], s20, v12, 0
	v_add_u32_e32 v4, 0x78, v4
	v_lshlrev_b64 v[7:8], 2, v[1:2]
	v_mov_b32_e32 v1, v6
	v_mad_u64_u32 v[9:10], s[28:29], s21, v12, v[1:2]
	v_mov_b32_e32 v6, v9
	v_lshlrev_b64 v[5:6], 2, v[5:6]
	v_add_co_u32_e32 v1, vcc, s3, v5
	v_addc_co_u32_e32 v6, vcc, v3, v6, vcc
	v_add_co_u32_e32 v5, vcc, v1, v7
	v_addc_co_u32_e32 v6, vcc, v6, v8, vcc
	global_load_dword v1, v[5:6], off
	v_mad_legacy_u16 v5, v12, s7, v11
	v_cmp_lt_u32_e32 vcc, s26, v4
	v_lshl_add_u32 v5, v5, 2, 0
	s_or_b64 s[14:15], vcc, s[14:15]
	s_waitcnt vmcnt(0)
	ds_write_b32 v5, v1
	s_andn2_b64 exec, exec, s[14:15]
	s_cbranch_execnz .LBB0_2
; %bb.3:
	s_or_b64 exec, exec, s[14:15]
	s_mov_b64 s[14:15], 0
.LBB0_4:
	s_and_b64 vcc, exec, s[14:15]
	s_cbranch_vccz .LBB0_6
; %bb.5:
	s_movk_i32 s14, 0xf10
	v_mul_u32_u24_sdwa v1, v0, s14 dst_sel:DWORD dst_unused:UNUSED_PAD src0_sel:WORD_0 src1_sel:DWORD
	v_lshrrev_b32_e32 v3, 16, v1
	v_mul_lo_u16_e32 v1, 17, v3
	v_sub_u16_e32 v4, v0, v1
	v_mad_u64_u32 v[5:6], s[26:27], s20, v4, 0
	v_mov_b32_e32 v2, 0
	s_lshl_b64 s[18:19], s[18:19], 2
	v_mov_b32_e32 v1, v6
	v_mad_u64_u32 v[6:7], s[26:27], s21, v4, v[1:2]
	s_add_u32 s3, s12, s18
	v_mul_lo_u32 v1, s22, v3
	v_lshlrev_b64 v[7:8], 2, v[5:6]
	v_add_u16_e32 v6, 0x78, v0
	v_mul_u32_u24_e32 v5, 0xf10, v6
	v_lshrrev_b32_e32 v5, 16, v5
	v_mul_lo_u16_e32 v9, 17, v5
	v_sub_u16_e32 v6, v6, v9
	s_addc_u32 s7, s13, s19
	v_mad_u64_u32 v[9:10], s[12:13], s20, v6, 0
	v_mov_b32_e32 v11, s7
	v_add_co_u32_e32 v12, vcc, s3, v7
	v_addc_co_u32_e32 v13, vcc, v11, v8, vcc
	v_lshlrev_b64 v[7:8], 2, v[1:2]
	v_mov_b32_e32 v1, v10
	v_mad_u64_u32 v[10:11], s[12:13], s21, v6, v[1:2]
	v_add_co_u32_e32 v15, vcc, v12, v7
	v_addc_co_u32_e32 v16, vcc, v13, v8, vcc
	v_add_u16_e32 v8, 0xf0, v0
	v_mul_lo_u32 v1, s22, v5
	v_mul_u32_u24_e32 v7, 0xf10, v8
	v_lshlrev_b64 v[9:10], 2, v[9:10]
	v_lshrrev_b32_e32 v7, 16, v7
	v_mul_lo_u16_e32 v11, 17, v7
	v_mov_b32_e32 v13, s7
	v_sub_u16_e32 v8, v8, v11
	v_add_co_u32_e32 v14, vcc, s3, v9
	v_mad_u64_u32 v[11:12], s[12:13], s20, v8, 0
	v_addc_co_u32_e32 v18, vcc, v13, v10, vcc
	v_lshlrev_b64 v[9:10], 2, v[1:2]
	v_mov_b32_e32 v1, v12
	v_add_co_u32_e32 v17, vcc, v14, v9
	v_addc_co_u32_e32 v18, vcc, v18, v10, vcc
	v_add_u16_e32 v10, 0x168, v0
	v_mul_u32_u24_e32 v9, 0xf10, v10
	v_mad_u64_u32 v[12:13], s[12:13], s21, v8, v[1:2]
	v_lshrrev_b32_e32 v9, 16, v9
	v_mul_lo_u16_e32 v13, 17, v9
	v_sub_u16_e32 v10, v10, v13
	v_mul_lo_u32 v1, s22, v7
	v_mad_u64_u32 v[13:14], s[12:13], s20, v10, 0
	v_lshlrev_b64 v[11:12], 2, v[11:12]
	v_mov_b32_e32 v19, s7
	v_add_co_u32_e32 v21, vcc, s3, v11
	v_addc_co_u32_e32 v22, vcc, v19, v12, vcc
	v_lshlrev_b64 v[11:12], 2, v[1:2]
	v_mov_b32_e32 v1, v14
	v_mad_u64_u32 v[19:20], s[12:13], s21, v10, v[1:2]
	v_add_co_u32_e32 v20, vcc, v21, v11
	v_addc_co_u32_e32 v21, vcc, v22, v12, vcc
	v_add_u16_e32 v12, 0x1e0, v0
	v_mul_u32_u24_e32 v11, 0xf10, v12
	v_lshrrev_b32_e32 v11, 16, v11
	v_mul_lo_u16_e32 v22, 17, v11
	v_sub_u16_e32 v12, v12, v22
	v_mov_b32_e32 v14, v19
	v_mul_lo_u32 v1, s22, v9
	v_mad_u64_u32 v[22:23], s[12:13], s20, v12, 0
	v_lshlrev_b64 v[13:14], 2, v[13:14]
	v_mov_b32_e32 v19, s7
	v_add_co_u32_e32 v25, vcc, s3, v13
	v_addc_co_u32_e32 v19, vcc, v19, v14, vcc
	v_lshlrev_b64 v[13:14], 2, v[1:2]
	v_mov_b32_e32 v1, v23
	v_mad_u64_u32 v[23:24], s[12:13], s21, v12, v[1:2]
	v_add_co_u32_e32 v24, vcc, v25, v13
	v_addc_co_u32_e32 v25, vcc, v19, v14, vcc
	v_add_u16_e32 v14, 0x258, v0
	v_mul_u32_u24_e32 v13, 0xf10, v14
	v_lshrrev_b32_e32 v13, 16, v13
	v_mul_lo_u16_e32 v26, 17, v13
	v_sub_u16_e32 v14, v14, v26
	v_mul_lo_u32 v1, s22, v11
	v_mad_u64_u32 v[26:27], s[12:13], s20, v14, 0
	v_lshlrev_b64 v[22:23], 2, v[22:23]
	v_mov_b32_e32 v19, s7
	v_add_co_u32_e32 v29, vcc, s3, v22
	v_addc_co_u32_e32 v19, vcc, v19, v23, vcc
	v_lshlrev_b64 v[22:23], 2, v[1:2]
	v_mov_b32_e32 v1, v27
	v_mad_u64_u32 v[27:28], s[12:13], s21, v14, v[1:2]
	v_add_u16_e32 v28, 0x2d0, v0
	v_add_co_u32_e32 v22, vcc, v29, v22
	v_mul_u32_u24_e32 v29, 0xf10, v28
	v_lshrrev_b32_e32 v35, 16, v29
	v_mul_lo_u16_e32 v29, 17, v35
	v_sub_u16_e32 v36, v28, v29
	v_mul_lo_u32 v1, s22, v13
	v_mad_u64_u32 v[28:29], s[12:13], s20, v36, 0
	v_lshlrev_b64 v[26:27], 2, v[26:27]
	v_addc_co_u32_e32 v23, vcc, v19, v23, vcc
	v_mov_b32_e32 v19, s7
	v_add_co_u32_e32 v31, vcc, s3, v26
	v_addc_co_u32_e32 v19, vcc, v19, v27, vcc
	v_lshlrev_b64 v[26:27], 2, v[1:2]
	v_mov_b32_e32 v1, v29
	v_mad_u64_u32 v[29:30], s[12:13], s21, v36, v[1:2]
	v_add_u16_e32 v30, 0x348, v0
	v_add_co_u32_e32 v26, vcc, v31, v26
	v_mul_u32_u24_e32 v31, 0xf10, v30
	v_lshrrev_b32_e32 v37, 16, v31
	v_mul_lo_u16_e32 v31, 17, v37
	v_sub_u16_e32 v38, v30, v31
	v_mul_lo_u32 v1, s22, v35
	v_mad_u64_u32 v[30:31], s[12:13], s20, v38, 0
	v_lshlrev_b64 v[28:29], 2, v[28:29]
	v_addc_co_u32_e32 v27, vcc, v19, v27, vcc
	v_mov_b32_e32 v19, s7
	v_add_co_u32_e32 v33, vcc, s3, v28
	v_addc_co_u32_e32 v19, vcc, v19, v29, vcc
	v_lshlrev_b64 v[28:29], 2, v[1:2]
	v_mov_b32_e32 v1, v31
	v_mad_u64_u32 v[31:32], s[12:13], s21, v38, v[1:2]
	v_mul_lo_u32 v1, s22, v37
	v_add_co_u32_e32 v28, vcc, v33, v28
	v_lshlrev_b64 v[30:31], 2, v[30:31]
	v_addc_co_u32_e32 v29, vcc, v19, v29, vcc
	v_mov_b32_e32 v19, s7
	v_add_co_u32_e32 v34, vcc, s3, v30
	v_addc_co_u32_e32 v19, vcc, v19, v31, vcc
	v_lshlrev_b64 v[30:31], 2, v[1:2]
	v_add_u16_e32 v1, 0x3c0, v0
	v_mul_u32_u24_e32 v32, 0xf10, v1
	v_lshrrev_b32_e32 v39, 16, v32
	v_mul_lo_u16_e32 v32, 17, v39
	v_sub_u16_e32 v40, v1, v32
	v_mad_u64_u32 v[32:33], s[12:13], s20, v40, 0
	v_add_co_u32_e32 v30, vcc, v34, v30
	v_mov_b32_e32 v1, v33
	v_mad_u64_u32 v[33:34], s[12:13], s21, v40, v[1:2]
	v_addc_co_u32_e32 v31, vcc, v19, v31, vcc
	global_load_dword v34, v[15:16], off
	global_load_dword v41, v[17:18], off
	;; [unrolled: 1-line block ×8, first 2 shown]
	v_add_u16_e32 v17, 0x438, v0
	v_mul_u32_u24_e32 v18, 0xf10, v17
	v_lshlrev_b64 v[15:16], 2, v[32:33]
	v_lshrrev_b32_e32 v33, 16, v18
	v_mul_lo_u16_e32 v18, 17, v33
	v_sub_u16_e32 v48, v17, v18
	v_mul_lo_u32 v1, s22, v39
	v_mad_u64_u32 v[17:18], s[12:13], s20, v48, 0
	v_mov_b32_e32 v19, s7
	v_add_co_u32_e32 v20, vcc, s3, v15
	v_addc_co_u32_e32 v21, vcc, v19, v16, vcc
	v_lshlrev_b64 v[15:16], 2, v[1:2]
	v_mov_b32_e32 v1, v18
	v_mad_u64_u32 v[18:19], s[12:13], s21, v48, v[1:2]
	v_add_u16_e32 v19, 0x4b0, v0
	v_add_co_u32_e32 v15, vcc, v20, v15
	v_mul_u32_u24_e32 v20, 0xf10, v19
	v_lshrrev_b32_e32 v49, 16, v20
	v_mul_lo_u16_e32 v20, 17, v49
	v_sub_u16_e32 v50, v19, v20
	v_mul_lo_u32 v1, s22, v33
	v_mad_u64_u32 v[19:20], s[12:13], s20, v50, 0
	v_lshlrev_b64 v[17:18], 2, v[17:18]
	v_addc_co_u32_e32 v16, vcc, v21, v16, vcc
	v_mov_b32_e32 v21, s7
	v_add_co_u32_e32 v22, vcc, s3, v17
	v_addc_co_u32_e32 v23, vcc, v21, v18, vcc
	v_lshlrev_b64 v[17:18], 2, v[1:2]
	v_mov_b32_e32 v1, v20
	v_mad_u64_u32 v[20:21], s[12:13], s21, v50, v[1:2]
	v_add_u16_e32 v21, 0x528, v0
	v_add_co_u32_e32 v17, vcc, v22, v17
	v_mul_u32_u24_e32 v22, 0xf10, v21
	v_lshrrev_b32_e32 v51, 16, v22
	v_mul_lo_u16_e32 v22, 17, v51
	v_sub_u16_e32 v52, v21, v22
	v_mul_lo_u32 v1, s22, v49
	v_mad_u64_u32 v[21:22], s[12:13], s20, v52, 0
	v_lshlrev_b64 v[19:20], 2, v[19:20]
	v_addc_co_u32_e32 v18, vcc, v23, v18, vcc
	;; [unrolled: 16-line block ×6, first 2 shown]
	v_mov_b32_e32 v31, s7
	v_add_co_u32_e32 v32, vcc, s3, v27
	v_addc_co_u32_e32 v61, vcc, v31, v28, vcc
	v_lshlrev_b64 v[27:28], 2, v[1:2]
	v_mov_b32_e32 v1, v30
	v_mad_u64_u32 v[30:31], s[12:13], s21, v60, v[1:2]
	v_mul_lo_u32 v1, s22, v59
	v_add_co_u32_e32 v27, vcc, v32, v27
	v_lshlrev_b64 v[29:30], 2, v[29:30]
	v_addc_co_u32_e32 v28, vcc, v61, v28, vcc
	v_mov_b32_e32 v31, s7
	v_add_co_u32_e32 v61, vcc, s3, v29
	v_addc_co_u32_e32 v62, vcc, v31, v30, vcc
	v_lshlrev_b64 v[29:30], 2, v[1:2]
	v_or_b32_e32 v1, 0x780, v0
	v_mul_u32_u24_sdwa v31, v1, s14 dst_sel:DWORD dst_unused:UNUSED_PAD src0_sel:WORD_0 src1_sel:DWORD
	v_lshrrev_b32_e32 v63, 16, v31
	v_mul_lo_u16_e32 v31, 17, v63
	v_sub_u16_e32 v64, v1, v31
	v_mad_u64_u32 v[31:32], s[12:13], s20, v64, 0
	v_add_co_u32_e32 v29, vcc, v61, v29
	global_load_dword v61, v[15:16], off
	v_mov_b32_e32 v1, v32
	global_load_dword v17, v[17:18], off
	v_mad_u64_u32 v[15:16], s[12:13], s21, v64, v[1:2]
	v_mul_lo_u32 v1, s22, v63
	v_addc_co_u32_e32 v30, vcc, v62, v30, vcc
	global_load_dword v18, v[19:20], off
	global_load_dword v62, v[21:22], off
	global_load_dword v65, v[23:24], off
	global_load_dword v66, v[25:26], off
	global_load_dword v67, v[27:28], off
	global_load_dword v68, v[29:30], off
	v_mov_b32_e32 v32, v15
	v_lshlrev_b64 v[15:16], 2, v[31:32]
	v_mov_b32_e32 v19, s7
	v_add_co_u32_e32 v15, vcc, s3, v15
	v_lshlrev_b64 v[1:2], 2, v[1:2]
	v_addc_co_u32_e32 v16, vcc, v19, v16, vcc
	v_add_co_u32_e32 v1, vcc, v15, v1
	v_addc_co_u32_e32 v2, vcc, v16, v2, vcc
	global_load_dword v1, v[1:2], off
	v_mul_lo_u16_e32 v2, 0x78, v4
	v_or_b32_e32 v2, v2, v3
	v_and_b32_e32 v2, 0xffff, v2
	s_movk_i32 s3, 0x78
	v_lshl_add_u32 v2, v2, 2, 0
	s_waitcnt vmcnt(16)
	ds_write_b32 v2, v34
	v_mad_legacy_u16 v2, v6, s3, v5
	v_lshl_add_u32 v2, v2, 2, 0
	s_waitcnt vmcnt(15)
	ds_write_b32 v2, v41
	v_mad_legacy_u16 v2, v8, s3, v7
	;; [unrolled: 4-line block ×16, first 2 shown]
	v_lshl_add_u32 v2, v2, 2, 0
	s_waitcnt vmcnt(0)
	ds_write_b32 v2, v1
.LBB0_6:
	s_movk_i32 s3, 0x223
	v_mul_u32_u24_sdwa v1, v0, s3 dst_sel:DWORD dst_unused:UNUSED_PAD src0_sel:WORD_0 src1_sel:DWORD
	s_movk_i32 s3, 0x78
	v_mul_lo_u16_sdwa v1, v1, s3 dst_sel:DWORD dst_unused:UNUSED_PAD src0_sel:WORD_1 src1_sel:DWORD
	v_sub_u16_e32 v34, v0, v1
	v_add_u32_e32 v1, s24, v34
	v_cmp_gt_u32_e32 vcc, s16, v1
	s_or_b64 s[10:11], s[10:11], vcc
	s_waitcnt lgkmcnt(0)
	s_barrier
	s_and_saveexec_b64 s[12:13], s[10:11]
	s_cbranch_execz .LBB0_8
; %bb.7:
	s_mov_b32 s3, 0x2222223
	v_mul_hi_u32 v36, v0, s3
	v_lshlrev_b32_e32 v0, 2, v34
	s_movk_i32 s27, 0x31e1
	s_mov_b32 s22, 0xb5c8
	v_mul_u32_u24_e32 v1, 0x1e0, v36
	v_add3_u32 v14, 0, v1, v0
	v_add_u32_e32 v0, 0xe00, v14
	v_add_u32_e32 v2, 0x1200, v14
	;; [unrolled: 1-line block ×4, first 2 shown]
	ds_read2_b32 v[0:1], v0 offset0:64 offset1:184
	ds_read2_b32 v[2:3], v2 offset0:48 offset1:168
	;; [unrolled: 1-line block ×3, first 2 shown]
	v_add_u32_e32 v4, 0x1600, v14
	ds_read2_b32 v[10:11], v8 offset0:96 offset1:216
	v_add_u32_e32 v8, 0x1a00, v14
	v_add_u32_e32 v12, 0x200, v14
	ds_read2_b32 v[4:5], v4 offset0:32 offset1:152
	ds_read2_b32 v[8:9], v8 offset0:16 offset1:136
	;; [unrolled: 1-line block ×3, first 2 shown]
	ds_read_b32 v40, v14 offset:7680
	ds_read2_b32 v[14:15], v14 offset1:120
	s_mov_b32 s20, 0xbbdd
	s_waitcnt lgkmcnt(4)
	v_add_f16_sdwa v59, v5, v10 dst_sel:DWORD dst_unused:UNUSED_PAD src0_sel:WORD_1 src1_sel:WORD_1
	s_movk_i32 s25, 0x3836
	s_waitcnt lgkmcnt(2)
	v_add_f16_sdwa v68, v9, v12 dst_sel:DWORD dst_unused:UNUSED_PAD src0_sel:WORD_1 src1_sel:WORD_1
	s_waitcnt lgkmcnt(0)
	v_add_f16_sdwa v73, v40, v15 dst_sel:DWORD dst_unused:UNUSED_PAD src0_sel:WORD_1 src1_sel:WORD_1
	v_mul_f16_e32 v30, 0xbbdd, v73
	v_sub_f16_e32 v60, v15, v40
	v_sub_f16_sdwa v78, v15, v40 dst_sel:DWORD dst_unused:UNUSED_PAD src0_sel:WORD_1 src1_sel:WORD_1
	v_add_f16_sdwa v64, v8, v13 dst_sel:DWORD dst_unused:UNUSED_PAD src0_sel:WORD_1 src1_sel:WORD_1
	v_mul_f16_e32 v28, 0x3b76, v68
	v_sub_f16_e32 v58, v12, v9
	v_fma_f16 v31, v60, s27, v30
	v_sub_f16_sdwa v77, v12, v9 dst_sel:DWORD dst_unused:UNUSED_PAD src0_sel:WORD_1 src1_sel:WORD_1
	v_add_f16_e32 v70, v40, v15
	v_mul_f16_e32 v41, 0xb1e1, v78
	v_mul_f16_e32 v26, 0xbacd, v64
	v_sub_f16_e32 v55, v13, v8
	s_movk_i32 s18, 0x3b76
	v_fma_f16 v29, v58, s22, v28
	v_add_f16_sdwa v31, v31, v14 dst_sel:DWORD dst_unused:UNUSED_PAD src0_sel:DWORD src1_sel:WORD_1
	v_sub_f16_sdwa v76, v13, v8 dst_sel:DWORD dst_unused:UNUSED_PAD src0_sel:WORD_1 src1_sel:WORD_1
	v_add_f16_e32 v69, v9, v12
	v_mul_f16_e32 v35, 0x35c8, v77
	v_fma_f16 v42, v70, s20, v41
	v_add_f16_sdwa v56, v4, v11 dst_sel:DWORD dst_unused:UNUSED_PAD src0_sel:WORD_1 src1_sel:WORD_1
	v_mul_f16_e32 v24, 0x39e9, v59
	v_sub_f16_e32 v54, v10, v5
	s_mov_b32 s19, 0xb964
	s_mov_b32 s16, 0xbacd
	v_fma_f16 v27, v55, s25, v26
	v_add_f16_e32 v29, v29, v31
	v_sub_f16_sdwa v75, v10, v5 dst_sel:DWORD dst_unused:UNUSED_PAD src0_sel:WORD_1 src1_sel:WORD_1
	v_add_f16_e32 v67, v8, v13
	v_mul_f16_e32 v33, 0xb836, v76
	v_fma_f16 v37, v69, s18, v35
	v_add_f16_e32 v42, v42, v14
	v_add_f16_sdwa v53, v3, v6 dst_sel:DWORD dst_unused:UNUSED_PAD src0_sel:WORD_1 src1_sel:WORD_1
	v_mul_f16_e32 v22, 0xb8d2, v56
	v_sub_f16_e32 v52, v11, v4
	s_movk_i32 s21, 0x3a62
	s_movk_i32 s15, 0x39e9
	v_fma_f16 v25, v54, s19, v24
	v_add_f16_e32 v27, v27, v29
	v_sub_f16_sdwa v74, v11, v4 dst_sel:DWORD dst_unused:UNUSED_PAD src0_sel:WORD_1 src1_sel:WORD_1
	v_add_f16_e32 v66, v5, v10
	v_mul_f16_e32 v32, 0x3964, v75
	v_add_f16_e32 v37, v37, v42
	v_fma_f16 v42, v67, s16, v33
	v_add_f16_sdwa v39, v2, v7 dst_sel:DWORD dst_unused:UNUSED_PAD src0_sel:WORD_1 src1_sel:WORD_1
	v_mul_f16_e32 v20, 0x3722, v53
	v_sub_f16_e32 v51, v6, v3
	s_mov_b32 s10, 0xbb29
	s_mov_b32 s14, 0xb8d2
	v_fma_f16 v23, v52, s21, v22
	v_add_f16_e32 v25, v25, v27
	v_sub_f16_sdwa v72, v6, v3 dst_sel:DWORD dst_unused:UNUSED_PAD src0_sel:WORD_1 src1_sel:WORD_1
	v_add_f16_e32 v65, v4, v11
	v_mul_f16_e32 v31, 0xba62, v74
	v_add_f16_e32 v37, v42, v37
	v_fma_f16 v42, v66, s15, v32
	v_add_f16_sdwa v38, v1, v0 dst_sel:DWORD dst_unused:UNUSED_PAD src0_sel:WORD_1 src1_sel:WORD_1
	v_mul_f16_e32 v19, 0xb461, v39
	v_sub_f16_e32 v50, v7, v2
	s_movk_i32 s11, 0x3bb2
	s_movk_i32 s13, 0x3722
	v_fma_f16 v21, v51, s10, v20
	v_add_f16_e32 v23, v23, v25
	v_sub_f16_sdwa v71, v7, v2 dst_sel:DWORD dst_unused:UNUSED_PAD src0_sel:WORD_1 src1_sel:WORD_1
	v_add_f16_e32 v63, v3, v6
	v_mul_f16_e32 v27, 0x3b29, v72
	v_add_f16_e32 v37, v42, v37
	v_fma_f16 v42, v65, s14, v31
	v_sub_f16_e32 v49, v0, v1
	v_mul_f16_e32 v18, 0x2de8, v38
	s_mov_b32 s3, 0xbbf7
	s_mov_b32 s12, 0xb461
	v_fma_f16 v17, v50, s11, v19
	v_add_f16_e32 v21, v21, v23
	v_sub_f16_sdwa v62, v0, v1 dst_sel:DWORD dst_unused:UNUSED_PAD src0_sel:WORD_1 src1_sel:WORD_1
	v_add_f16_e32 v61, v2, v7
	v_mul_f16_e32 v23, 0xbbb2, v71
	v_fma_f16 v29, v63, s13, v27
	v_add_f16_e32 v37, v42, v37
	s_movk_i32 s7, 0x2de8
	v_fma_f16 v16, v49, s3, v18
	v_add_f16_e32 v17, v17, v21
	v_add_f16_e32 v57, v1, v0
	v_mul_f16_e32 v21, 0x3bf7, v62
	v_fma_f16 v25, v61, s12, v23
	v_add_f16_e32 v29, v29, v37
	v_add_f16_e32 v16, v16, v17
	v_fma_f16 v17, v57, s7, v21
	s_mov_b32 s30, 0xb836
	s_movk_i32 s35, 0x35c8
	s_mov_b32 s31, 0xb1e1
	v_add_f16_e32 v25, v25, v29
	v_add_f16_e32 v17, v17, v25
	v_fma_f16 v25, v55, s30, v26
	v_fma_f16 v26, v58, s35, v28
	;; [unrolled: 1-line block ×3, first 2 shown]
	v_add_f16_sdwa v28, v28, v14 dst_sel:DWORD dst_unused:UNUSED_PAD src0_sel:DWORD src1_sel:WORD_1
	s_movk_i32 s34, 0x3964
	v_add_f16_e32 v26, v26, v28
	s_mov_b32 s28, 0xba62
	v_fma_f16 v24, v54, s34, v24
	v_add_f16_e32 v25, v25, v26
	s_movk_i32 s33, 0x3b29
	v_fma_f16 v22, v52, s28, v22
	v_add_f16_e32 v24, v24, v25
	s_mov_b32 s26, 0xbbb2
	v_fma_f16 v20, v51, s33, v20
	v_add_f16_e32 v22, v22, v24
	v_fma_f16 v19, v50, s26, v19
	v_add_f16_e32 v20, v20, v22
	v_fma_f16 v25, v69, s18, -v35
	v_fma_f16 v26, v70, s20, -v41
	v_mul_f16_e32 v35, 0xbacd, v73
	v_add_f16_e32 v19, v19, v20
	v_fma_f16 v20, v61, s12, -v23
	v_fma_f16 v23, v66, s15, -v32
	v_add_f16_e32 v26, v26, v14
	v_mul_f16_e32 v32, 0x3722, v68
	v_fma_f16 v37, v60, s25, v35
	s_movk_i32 s29, 0x3bf7
	v_fma_f16 v24, v67, s16, -v33
	v_add_f16_e32 v25, v25, v26
	v_mul_f16_e32 v30, 0x2de8, v64
	v_fma_f16 v33, v58, s10, v32
	v_add_f16_sdwa v37, v37, v14 dst_sel:DWORD dst_unused:UNUSED_PAD src0_sel:DWORD src1_sel:WORD_1
	v_fma_f16 v22, v65, s14, -v31
	v_add_f16_e32 v24, v24, v25
	v_mul_f16_e32 v28, 0xb8d2, v59
	v_fma_f16 v31, v55, s29, v30
	v_add_f16_e32 v33, v33, v37
	v_fma_f16 v18, v49, s29, v18
	v_add_f16_e32 v23, v23, v24
	v_mul_f16_e32 v26, 0x3b76, v56
	v_fma_f16 v29, v54, s28, v28
	v_add_f16_e32 v31, v31, v33
	v_add_f16_e32 v18, v18, v19
	v_fma_f16 v19, v57, s7, -v21
	v_fma_f16 v21, v63, s13, -v27
	v_add_f16_e32 v22, v22, v23
	v_mul_f16_e32 v24, 0xbbdd, v53
	v_fma_f16 v27, v52, s35, v26
	v_add_f16_e32 v29, v29, v31
	v_add_f16_e32 v21, v21, v22
	v_mul_f16_e32 v23, 0x39e9, v39
	v_fma_f16 v25, v51, s27, v24
	v_add_f16_e32 v27, v27, v29
	;; [unrolled: 4-line block ×3, first 2 shown]
	v_mul_f16_e32 v41, 0xb836, v78
	v_add_f16_e32 v19, v19, v20
	v_fma_f16 v20, v49, s11, v22
	v_add_f16_e32 v21, v21, v25
	v_mul_f16_e32 v37, 0x3b29, v77
	v_fma_f16 v42, v70, s16, v41
	v_fma_f16 v35, v60, s30, v35
	v_add_f16_e32 v20, v20, v21
	v_mul_f16_e32 v33, 0xbbf7, v76
	v_fma_f16 v21, v69, s13, v37
	v_add_f16_e32 v42, v42, v14
	v_fma_f16 v32, v58, s33, v32
	v_add_f16_sdwa v35, v35, v14 dst_sel:DWORD dst_unused:UNUSED_PAD src0_sel:DWORD src1_sel:WORD_1
	v_mul_f16_e32 v31, 0x3a62, v75
	v_add_f16_e32 v21, v21, v42
	v_fma_f16 v42, v67, s7, v33
	v_fma_f16 v30, v55, s3, v30
	v_add_f16_e32 v32, v32, v35
	v_mul_f16_e32 v29, 0xb5c8, v74
	v_add_f16_e32 v21, v42, v21
	v_fma_f16 v42, v66, s14, v31
	v_fma_f16 v28, v54, s21, v28
	v_add_f16_e32 v30, v30, v32
	;; [unrolled: 5-line block ×4, first 2 shown]
	v_add_f16_e32 v21, v42, v21
	v_fma_f16 v42, v61, s15, v25
	v_fma_f16 v23, v50, s34, v23
	v_add_f16_e32 v24, v24, v26
	v_add_f16_e32 v21, v42, v21
	v_mul_f16_e32 v42, 0xbbb2, v62
	v_fma_f16 v22, v49, s26, v22
	v_add_f16_e32 v23, v23, v24
	v_fma_f16 v30, v70, s16, -v41
	v_mul_f16_e32 v41, 0xb8d2, v73
	v_fma_f16 v43, v57, s12, v42
	v_add_f16_e32 v22, v22, v23
	v_fma_f16 v23, v57, s12, -v42
	v_fma_f16 v26, v65, s18, -v29
	;; [unrolled: 1-line block ×3, first 2 shown]
	v_add_f16_e32 v30, v30, v14
	v_mul_f16_e32 v35, 0xb461, v68
	v_fma_f16 v42, v60, s21, v41
	v_fma_f16 v28, v67, s7, -v33
	v_add_f16_e32 v29, v29, v30
	v_mul_f16_e32 v33, 0x3b76, v64
	v_fma_f16 v37, v58, s26, v35
	v_add_f16_sdwa v42, v42, v14 dst_sel:DWORD dst_unused:UNUSED_PAD src0_sel:DWORD src1_sel:WORD_1
	v_fma_f16 v24, v61, s15, -v25
	v_fma_f16 v25, v63, s20, -v27
	;; [unrolled: 1-line block ×3, first 2 shown]
	v_add_f16_e32 v28, v28, v29
	v_mul_f16_e32 v32, 0xbacd, v59
	v_add_f16_e32 v37, v37, v42
	v_fma_f16 v42, v55, s35, v33
	v_add_f16_e32 v27, v27, v28
	v_mul_f16_e32 v30, 0x2de8, v56
	v_add_f16_e32 v37, v42, v37
	v_fma_f16 v42, v54, s25, v32
	v_add_f16_e32 v26, v26, v27
	v_mul_f16_e32 v28, 0x39e9, v53
	v_fma_f16 v31, v52, s3, v30
	v_add_f16_e32 v37, v42, v37
	v_add_f16_e32 v25, v25, v26
	v_mul_f16_e32 v27, 0xbbdd, v39
	v_fma_f16 v29, v51, s34, v28
	v_add_f16_e32 v31, v31, v37
	;; [unrolled: 4-line block ×3, first 2 shown]
	v_mul_f16_e32 v37, 0xba62, v78
	v_add_f16_e32 v24, v23, v24
	v_fma_f16 v23, v49, s10, v26
	v_add_f16_e32 v25, v25, v29
	v_mul_f16_e32 v31, 0x3bb2, v77
	v_fma_f16 v42, v70, s14, v37
	v_add_f16_e32 v23, v23, v25
	v_mul_f16_e32 v29, 0xb5c8, v76
	v_fma_f16 v25, v69, s12, v31
	v_add_f16_e32 v42, v42, v14
	v_add_f16_e32 v25, v25, v42
	v_fma_f16 v42, v67, s18, v29
	v_fma_f16 v41, v60, s28, v41
	v_add_f16_e32 v25, v42, v25
	v_mul_f16_e32 v42, 0xb836, v75
	v_fma_f16 v35, v58, s11, v35
	v_add_f16_sdwa v41, v41, v14 dst_sel:DWORD dst_unused:UNUSED_PAD src0_sel:DWORD src1_sel:WORD_1
	v_add_f16_e32 v21, v43, v21
	v_fma_f16 v43, v66, s16, v42
	v_add_f16_e32 v35, v35, v41
	v_fma_f16 v33, v55, s22, v33
	v_add_f16_e32 v25, v43, v25
	v_mul_f16_e32 v43, 0x3bf7, v74
	v_add_f16_e32 v33, v33, v35
	v_fma_f16 v35, v70, s14, -v37
	v_fma_f16 v44, v65, s7, v43
	v_fma_f16 v31, v69, s12, -v31
	v_add_f16_e32 v35, v35, v14
	v_add_f16_e32 v25, v44, v25
	v_mul_f16_e32 v44, 0xb964, v72
	v_fma_f16 v32, v54, s30, v32
	v_fma_f16 v29, v67, s18, -v29
	v_add_f16_e32 v31, v31, v35
	v_fma_f16 v45, v63, s15, v44
	v_add_f16_e32 v32, v32, v33
	v_fma_f16 v30, v52, s29, v30
	v_fma_f16 v33, v66, s16, -v42
	v_add_f16_e32 v29, v29, v31
	v_add_f16_e32 v25, v45, v25
	v_mul_f16_e32 v45, 0xb1e1, v71
	v_add_f16_e32 v30, v30, v32
	v_fma_f16 v28, v51, s19, v28
	v_fma_f16 v32, v65, s7, -v43
	v_add_f16_e32 v29, v33, v29
	v_fma_f16 v46, v61, s20, v45
	v_fma_f16 v27, v50, s31, v27
	v_add_f16_e32 v28, v28, v30
	v_fma_f16 v30, v63, s15, -v44
	v_add_f16_e32 v29, v32, v29
	v_add_f16_e32 v25, v46, v25
	v_mul_f16_e32 v46, 0x3b29, v62
	v_fma_f16 v26, v49, s33, v26
	v_add_f16_e32 v27, v27, v28
	v_fma_f16 v28, v61, s20, -v45
	v_add_f16_e32 v29, v30, v29
	v_mul_f16_e32 v42, 0xb461, v73
	v_add_f16_e32 v27, v26, v27
	v_fma_f16 v26, v57, s13, -v46
	v_add_f16_e32 v28, v28, v29
	v_mul_f16_e32 v41, 0xbacd, v68
	v_fma_f16 v29, v60, s11, v42
	v_add_f16_e32 v28, v26, v28
	v_mul_f16_e32 v37, 0x39e9, v64
	v_fma_f16 v26, v58, s30, v41
	v_add_f16_sdwa v29, v29, v14 dst_sel:DWORD dst_unused:UNUSED_PAD src0_sel:DWORD src1_sel:WORD_1
	v_mul_f16_e32 v35, 0x3722, v59
	v_add_f16_e32 v26, v26, v29
	v_fma_f16 v29, v55, s19, v37
	v_mul_f16_e32 v33, 0xbbdd, v56
	v_add_f16_e32 v26, v29, v26
	v_fma_f16 v29, v54, s33, v35
	;; [unrolled: 3-line block ×5, first 2 shown]
	v_fma_f16 v42, v60, s26, v42
	v_add_f16_e32 v26, v29, v26
	v_fma_f16 v29, v49, s21, v30
	v_mul_f16_e32 v43, 0xbbb2, v78
	v_fma_f16 v41, v58, s25, v41
	v_add_f16_sdwa v42, v42, v14 dst_sel:DWORD dst_unused:UNUSED_PAD src0_sel:DWORD src1_sel:WORD_1
	v_add_f16_e32 v26, v29, v26
	v_fma_f16 v29, v70, s12, v43
	v_mul_f16_e32 v44, 0x3836, v77
	v_add_f16_e32 v41, v41, v42
	v_fma_f16 v37, v55, s34, v37
	v_add_f16_e32 v29, v29, v14
	v_fma_f16 v45, v69, s16, v44
	;; [unrolled: 2-line block ×3, first 2 shown]
	v_add_f16_e32 v29, v45, v29
	v_mul_f16_e32 v45, 0x3964, v76
	v_add_f16_e32 v35, v35, v37
	v_fma_f16 v33, v52, s31, v33
	v_fma_f16 v47, v57, s13, v46
	;; [unrolled: 1-line block ×3, first 2 shown]
	v_add_f16_e32 v33, v33, v35
	v_fma_f16 v32, v51, s29, v32
	v_add_f16_e32 v29, v46, v29
	v_mul_f16_e32 v46, 0xbb29, v75
	v_add_f16_e32 v32, v32, v33
	v_fma_f16 v31, v50, s22, v31
	v_add_f16_e32 v25, v47, v25
	v_fma_f16 v47, v66, s13, v46
	;; [unrolled: 2-line block ×3, first 2 shown]
	v_add_f16_e32 v29, v47, v29
	v_mul_f16_e32 v47, 0xb1e1, v74
	v_add_f16_e32 v41, v30, v31
	v_fma_f16 v31, v70, s12, -v43
	v_fma_f16 v48, v65, s20, v47
	v_fma_f16 v30, v69, s16, -v44
	v_add_f16_e32 v31, v31, v14
	v_add_f16_e32 v29, v48, v29
	v_mul_f16_e32 v48, 0x3bf7, v72
	v_add_f16_e32 v30, v30, v31
	v_fma_f16 v42, v67, s15, -v45
	v_fma_f16 v79, v63, s7, v48
	v_fma_f16 v37, v66, s13, -v46
	v_add_f16_e32 v30, v42, v30
	v_add_f16_e32 v29, v79, v29
	v_mul_f16_e32 v79, 0xb5c8, v71
	v_fma_f16 v35, v65, s20, -v47
	v_add_f16_e32 v30, v37, v30
	v_fma_f16 v80, v61, s18, v79
	v_fma_f16 v33, v63, s7, -v48
	v_add_f16_e32 v30, v35, v30
	v_add_f16_e32 v29, v80, v29
	v_mul_f16_e32 v80, 0xba62, v62
	v_fma_f16 v32, v61, s18, -v79
	v_add_f16_e32 v30, v33, v30
	v_fma_f16 v31, v57, s14, -v80
	v_add_f16_e32 v30, v32, v30
	v_mul_f16_e32 v37, 0x2de8, v73
	v_add_f16_e32 v42, v31, v30
	v_mul_f16_e32 v35, 0xbbdd, v68
	v_fma_f16 v31, v60, s29, v37
	v_mul_f16_e32 v33, 0xb461, v64
	v_fma_f16 v30, v58, s27, v35
	v_add_f16_sdwa v31, v31, v14 dst_sel:DWORD dst_unused:UNUSED_PAD src0_sel:DWORD src1_sel:WORD_1
	v_mul_f16_e32 v32, 0x3b76, v59
	v_add_f16_e32 v30, v30, v31
	v_fma_f16 v31, v55, s26, v33
	v_add_f16_e32 v30, v31, v30
	v_fma_f16 v31, v54, s22, v32
	v_mul_f16_e32 v43, 0x3722, v56
	v_add_f16_e32 v30, v31, v30
	v_fma_f16 v31, v52, s33, v43
	v_mul_f16_e32 v44, 0xbacd, v53
	;; [unrolled: 3-line block ×4, first 2 shown]
	v_fma_f16 v37, v60, s3, v37
	v_add_f16_e32 v30, v31, v30
	v_fma_f16 v31, v49, s19, v46
	v_mul_f16_e32 v47, 0xbbf7, v78
	v_fma_f16 v35, v58, s31, v35
	v_add_f16_sdwa v37, v37, v14 dst_sel:DWORD dst_unused:UNUSED_PAD src0_sel:DWORD src1_sel:WORD_1
	v_add_f16_e32 v30, v31, v30
	v_fma_f16 v31, v70, s7, v47
	v_mul_f16_e32 v48, 0xb1e1, v77
	v_add_f16_e32 v35, v35, v37
	v_fma_f16 v33, v55, s11, v33
	v_add_f16_e32 v31, v31, v14
	v_fma_f16 v79, v69, s20, v48
	;; [unrolled: 2-line block ×3, first 2 shown]
	v_add_f16_e32 v31, v79, v31
	v_mul_f16_e32 v79, 0x3bb2, v76
	v_add_f16_e32 v32, v32, v33
	v_fma_f16 v33, v52, s10, v43
	v_fma_f16 v81, v57, s14, v80
	;; [unrolled: 1-line block ×3, first 2 shown]
	v_add_f16_e32 v32, v33, v32
	v_fma_f16 v33, v51, s30, v44
	v_add_f16_e32 v31, v80, v31
	v_mul_f16_e32 v80, 0x35c8, v75
	v_add_f16_e32 v32, v33, v32
	v_fma_f16 v33, v50, s21, v45
	v_add_f16_e32 v29, v81, v29
	v_fma_f16 v81, v66, s18, v80
	v_add_f16_e32 v32, v33, v32
	v_fma_f16 v33, v49, s34, v46
	v_add_f16_e32 v31, v81, v31
	v_mul_f16_e32 v81, 0xbb29, v74
	v_add_f16_e32 v43, v33, v32
	v_fma_f16 v33, v70, s7, -v47
	v_fma_f16 v82, v65, s13, v81
	v_fma_f16 v32, v69, s20, -v48
	v_add_f16_e32 v33, v33, v14
	v_add_f16_e32 v31, v82, v31
	v_mul_f16_e32 v82, 0xb836, v72
	v_add_f16_e32 v32, v32, v33
	v_fma_f16 v33, v67, s12, -v79
	v_fma_f16 v83, v63, s16, v82
	v_add_f16_e32 v32, v33, v32
	v_fma_f16 v33, v66, s18, -v80
	v_add_f16_e32 v31, v83, v31
	v_mul_f16_e32 v83, 0x3a62, v71
	v_add_f16_e32 v32, v33, v32
	v_fma_f16 v33, v65, s13, -v81
	v_fma_f16 v84, v61, s14, v83
	v_add_f16_e32 v32, v33, v32
	v_fma_f16 v33, v63, s16, -v82
	v_add_f16_e32 v31, v84, v31
	v_mul_f16_e32 v84, 0x3964, v62
	v_add_f16_e32 v32, v33, v32
	v_fma_f16 v35, v61, s14, -v83
	v_fma_f16 v33, v57, s15, -v84
	v_add_f16_e32 v32, v35, v32
	v_mul_f16_e32 v35, 0x3722, v73
	v_add_f16_e32 v44, v33, v32
	v_fma_f16 v32, v60, s33, v35
	v_mul_f16_e32 v37, 0xb8d2, v68
	v_add_f16_sdwa v32, v32, v14 dst_sel:DWORD dst_unused:UNUSED_PAD src0_sel:DWORD src1_sel:WORD_1
	v_fma_f16 v33, v58, s21, v37
	v_mul_f16_e32 v45, 0xbbdd, v64
	v_add_f16_e32 v32, v33, v32
	v_fma_f16 v33, v55, s31, v45
	v_mul_f16_e32 v46, 0xb461, v59
	v_add_f16_e32 v32, v33, v32
	;; [unrolled: 3-line block ×5, first 2 shown]
	v_fma_f16 v33, v50, s29, v79
	v_mul_f16_e32 v80, 0xbacd, v38
	v_fma_f16 v35, v60, s10, v35
	v_add_f16_e32 v32, v33, v32
	v_fma_f16 v33, v49, s25, v80
	v_mul_f16_e32 v81, 0xbb29, v78
	v_fma_f16 v37, v58, s28, v37
	v_add_f16_sdwa v35, v35, v14 dst_sel:DWORD dst_unused:UNUSED_PAD src0_sel:DWORD src1_sel:WORD_1
	v_add_f16_e32 v32, v33, v32
	v_fma_f16 v33, v70, s13, v81
	v_mul_f16_e32 v82, 0xba62, v77
	v_add_f16_e32 v35, v37, v35
	v_fma_f16 v37, v55, s27, v45
	v_add_f16_e32 v33, v33, v14
	v_fma_f16 v83, v69, s14, v82
	v_add_f16_e32 v35, v37, v35
	v_fma_f16 v37, v54, s11, v46
	v_add_f16_e32 v33, v83, v33
	v_mul_f16_e32 v83, 0x31e1, v76
	v_add_f16_e32 v35, v37, v35
	v_fma_f16 v37, v52, s34, v47
	v_fma_f16 v85, v57, s15, v84
	;; [unrolled: 1-line block ×3, first 2 shown]
	v_add_f16_e32 v35, v37, v35
	v_fma_f16 v37, v51, s22, v48
	v_add_f16_e32 v33, v84, v33
	v_mul_f16_e32 v84, 0x3bb2, v75
	v_add_f16_e32 v35, v37, v35
	v_fma_f16 v37, v50, s3, v79
	v_add_f16_e32 v31, v85, v31
	v_fma_f16 v85, v66, s12, v84
	;; [unrolled: 2-line block ×3, first 2 shown]
	v_add_f16_e32 v33, v85, v33
	v_mul_f16_e32 v85, 0x3964, v74
	v_add_f16_e32 v45, v37, v35
	v_fma_f16 v37, v70, s13, -v81
	v_fma_f16 v86, v65, s15, v85
	v_fma_f16 v35, v69, s14, -v82
	v_add_f16_e32 v37, v37, v14
	v_add_f16_e32 v33, v86, v33
	v_mul_f16_e32 v86, 0xb5c8, v72
	v_add_f16_e32 v35, v35, v37
	v_fma_f16 v37, v67, s20, -v83
	v_fma_f16 v87, v63, s18, v86
	v_add_f16_e32 v35, v37, v35
	v_fma_f16 v37, v66, s12, -v84
	v_add_f16_e32 v33, v87, v33
	v_mul_f16_e32 v87, 0xbbf7, v71
	v_add_f16_e32 v35, v37, v35
	v_fma_f16 v37, v65, s15, -v85
	v_fma_f16 v88, v61, s7, v87
	v_add_f16_e32 v35, v37, v35
	v_fma_f16 v37, v63, s18, -v86
	v_add_f16_e32 v33, v88, v33
	v_mul_f16_e32 v88, 0xb836, v62
	v_add_f16_e32 v35, v37, v35
	v_fma_f16 v37, v61, s7, -v87
	v_add_f16_e32 v35, v37, v35
	v_fma_f16 v37, v57, s16, -v88
	v_mul_f16_e32 v47, 0x39e9, v73
	v_add_f16_e32 v46, v37, v35
	v_fma_f16 v35, v60, s34, v47
	v_mul_f16_e32 v48, 0x2de8, v68
	v_add_f16_sdwa v35, v35, v14 dst_sel:DWORD dst_unused:UNUSED_PAD src0_sel:DWORD src1_sel:WORD_1
	v_fma_f16 v37, v58, s29, v48
	v_mul_f16_e32 v79, 0xb8d2, v64
	v_add_f16_e32 v35, v37, v35
	v_fma_f16 v37, v55, s21, v79
	v_mul_f16_e32 v80, 0xbbdd, v59
	v_add_f16_e32 v35, v37, v35
	;; [unrolled: 3-line block ×6, first 2 shown]
	v_fma_f16 v37, v49, s22, v84
	v_mul_f16_e32 v85, 0xb964, v78
	v_fma_f16 v47, v60, s19, v47
	v_add_f16_e32 v35, v37, v35
	v_fma_f16 v37, v70, s15, v85
	v_mul_f16_e32 v86, 0xbbf7, v77
	v_fma_f16 v48, v58, s3, v48
	v_add_f16_sdwa v47, v47, v14 dst_sel:DWORD dst_unused:UNUSED_PAD src0_sel:DWORD src1_sel:WORD_1
	v_add_f16_e32 v37, v37, v14
	v_fma_f16 v87, v69, s7, v86
	v_add_f16_e32 v47, v48, v47
	v_fma_f16 v48, v55, s28, v79
	v_add_f16_e32 v37, v87, v37
	v_mul_f16_e32 v87, 0xba62, v76
	v_add_f16_e32 v47, v48, v47
	v_fma_f16 v48, v54, s31, v80
	v_fma_f16 v89, v57, s16, v88
	;; [unrolled: 1-line block ×3, first 2 shown]
	v_add_f16_e32 v47, v48, v47
	v_fma_f16 v48, v52, s25, v81
	v_add_f16_e32 v37, v88, v37
	v_mul_f16_e32 v88, 0xb1e1, v75
	v_add_f16_e32 v47, v48, v47
	v_fma_f16 v48, v51, s11, v82
	v_add_f16_e32 v33, v89, v33
	v_fma_f16 v89, v66, s20, v88
	v_add_f16_e32 v47, v48, v47
	v_fma_f16 v48, v50, s33, v83
	v_add_f16_e32 v37, v89, v37
	v_mul_f16_e32 v89, 0x3836, v74
	v_add_f16_e32 v47, v48, v47
	v_fma_f16 v48, v49, s35, v84
	v_fma_f16 v79, v70, s15, -v85
	v_fma_f16 v90, v65, s16, v89
	v_add_f16_e32 v47, v48, v47
	v_fma_f16 v48, v69, s7, -v86
	v_add_f16_e32 v79, v79, v14
	v_add_f16_e32 v37, v90, v37
	v_mul_f16_e32 v90, 0x3bb2, v72
	v_add_f16_e32 v48, v48, v79
	v_fma_f16 v79, v67, s14, -v87
	v_fma_f16 v91, v63, s12, v90
	v_add_f16_e32 v48, v79, v48
	v_fma_f16 v79, v66, s20, -v88
	v_add_f16_e32 v37, v91, v37
	v_mul_f16_e32 v91, 0x3b29, v71
	v_add_f16_e32 v48, v79, v48
	v_fma_f16 v79, v65, s16, -v89
	v_fma_f16 v92, v61, s13, v91
	v_add_f16_e32 v48, v79, v48
	v_fma_f16 v79, v63, s12, -v90
	v_add_f16_e32 v37, v92, v37
	v_mul_f16_e32 v92, 0x35c8, v62
	v_add_f16_e32 v48, v79, v48
	v_fma_f16 v79, v61, s13, -v91
	v_add_f16_e32 v48, v79, v48
	v_fma_f16 v79, v57, s18, -v92
	v_mul_f16_e32 v73, 0x3b76, v73
	v_add_f16_e32 v48, v79, v48
	v_mul_f16_e32 v68, 0x39e9, v68
	v_fma_f16 v79, v60, s35, v73
	v_add_f16_sdwa v79, v79, v14 dst_sel:DWORD dst_unused:UNUSED_PAD src0_sel:DWORD src1_sel:WORD_1
	v_fma_f16 v80, v58, s34, v68
	v_mul_f16_e32 v64, 0x3722, v64
	v_add_f16_e32 v79, v80, v79
	v_fma_f16 v80, v55, s33, v64
	v_mul_f16_e32 v59, 0x2de8, v59
	v_add_f16_e32 v79, v80, v79
	;; [unrolled: 3-line block ×4, first 2 shown]
	v_fma_f16 v80, v51, s21, v53
	v_add_f16_e32 v79, v80, v79
	v_mul_f16_e32 v80, 0xbacd, v39
	v_fma_f16 v39, v50, s25, v80
	v_add_f16_e32 v39, v39, v79
	v_mul_f16_e32 v79, 0xbbdd, v38
	v_fma_f16 v38, v49, s27, v79
	v_mul_f16_e32 v78, 0xb5c8, v78
	v_fma_f16 v52, v52, s26, v56
	v_fma_f16 v56, v60, s22, v73
	v_add_f16_e32 v38, v38, v39
	v_mul_f16_e32 v77, 0xb964, v77
	v_fma_f16 v39, v70, s18, v78
	v_fma_f16 v51, v51, s28, v53
	;; [unrolled: 1-line block ×5, first 2 shown]
	v_add_f16_sdwa v56, v56, v14 dst_sel:DWORD dst_unused:UNUSED_PAD src0_sel:DWORD src1_sel:WORD_1
	v_add_f16_e32 v39, v39, v14
	v_fma_f16 v81, v69, s15, v77
	v_mul_f16_e32 v76, 0xbb29, v76
	v_add_f16_e32 v55, v55, v56
	v_add_f16_e32 v39, v81, v39
	v_fma_f16 v81, v67, s13, v76
	v_mul_f16_e32 v75, 0xbbf7, v75
	v_add_f16_e32 v54, v54, v55
	;; [unrolled: 4-line block ×4, first 2 shown]
	v_add_f16_e32 v39, v81, v39
	v_fma_f16 v81, v63, s14, v72
	v_mul_f16_e32 v71, 0xb836, v71
	v_fma_f16 v50, v50, s30, v80
	v_add_f16_e32 v51, v51, v52
	v_add_f16_e32 v39, v81, v39
	v_fma_f16 v81, v61, s16, v71
	v_mul_f16_e32 v62, 0xb1e1, v62
	v_fma_f16 v49, v49, s31, v79
	v_add_f16_e32 v50, v50, v51
	v_fma_f16 v93, v57, s18, v92
	v_add_f16_e32 v39, v81, v39
	;; [unrolled: 2-line block ×3, first 2 shown]
	v_fma_f16 v50, v57, s20, -v62
	v_fma_f16 v57, v70, s18, -v78
	;; [unrolled: 1-line block ×3, first 2 shown]
	v_add_f16_e32 v57, v57, v14
	v_fma_f16 v55, v67, s13, -v76
	v_add_f16_e32 v56, v56, v57
	v_fma_f16 v54, v66, s7, -v75
	;; [unrolled: 2-line block ×5, first 2 shown]
	v_add_f16_e32 v52, v52, v53
	v_add_f16_e32 v51, v51, v52
	;; [unrolled: 1-line block ×3, first 2 shown]
	v_add_f16_sdwa v51, v15, v14 dst_sel:DWORD dst_unused:UNUSED_PAD src0_sel:WORD_1 src1_sel:WORD_1
	v_add_f16_e32 v14, v15, v14
	v_add_f16_sdwa v51, v51, v12 dst_sel:DWORD dst_unused:UNUSED_PAD src0_sel:DWORD src1_sel:WORD_1
	v_add_f16_e32 v12, v14, v12
	v_add_f16_sdwa v51, v51, v13 dst_sel:DWORD dst_unused:UNUSED_PAD src0_sel:DWORD src1_sel:WORD_1
	;; [unrolled: 2-line block ×10, first 2 shown]
	v_add_f16_e32 v0, v0, v3
	v_mad_u64_u32 v[2:3], s[12:13], s0, v34, 0
	s_load_dwordx2 s[4:5], s[4:5], 0x60
	v_add_f16_e32 v0, v0, v4
	v_add_f16_e32 v0, v0, v5
	s_mul_i32 s10, s1, s24
	s_mul_hi_u32 s11, s0, s24
	v_add_f16_sdwa v51, v51, v4 dst_sel:DWORD dst_unused:UNUSED_PAD src0_sel:DWORD src1_sel:WORD_1
	v_add_f16_e32 v4, v0, v8
	v_mov_b32_e32 v0, v3
	s_add_i32 s11, s11, s10
	s_mul_i32 s10, s0, s24
	s_mul_i32 s9, s9, s17
	s_mul_hi_u32 s19, s8, s17
	v_mad_u64_u32 v[0:1], s[0:1], s1, v34, v[0:1]
	s_add_i32 s9, s19, s9
	s_lshl_b64 s[0:1], s[10:11], 2
	s_mul_i32 s2, s23, s2
	s_mov_b32 s3, 0
	s_waitcnt lgkmcnt(0)
	s_add_u32 s4, s4, s0
	s_addc_u32 s5, s5, s1
	s_lshl_b64 s[0:1], s[2:3], 2
	s_mul_i32 s8, s8, s17
	v_add_f16_sdwa v51, v51, v5 dst_sel:DWORD dst_unused:UNUSED_PAD src0_sel:DWORD src1_sel:WORD_1
	v_mov_b32_e32 v3, v0
	v_mul_u32_u24_e32 v0, 17, v36
	s_add_u32 s2, s4, s0
	v_add_f16_sdwa v51, v51, v8 dst_sel:DWORD dst_unused:UNUSED_PAD src0_sel:DWORD src1_sel:WORD_1
	v_mul_lo_u32 v0, v0, s6
	s_addc_u32 s3, s5, s1
	s_lshl_b64 s[0:1], s[8:9], 2
	v_add_f16_sdwa v51, v51, v9 dst_sel:DWORD dst_unused:UNUSED_PAD src0_sel:DWORD src1_sel:WORD_1
	v_add_f16_e32 v1, v4, v9
	s_add_u32 s0, s2, s0
	v_lshlrev_b64 v[2:3], 2, v[2:3]
	v_add_f16_sdwa v51, v51, v40 dst_sel:WORD_1 dst_unused:UNUSED_PAD src0_sel:DWORD src1_sel:WORD_1
	v_add_f16_e32 v1, v1, v40
	s_addc_u32 s1, s3, s1
	v_or_b32_e32 v6, v51, v1
	v_mov_b32_e32 v1, 0
	v_mov_b32_e32 v4, s1
	v_add_co_u32_e32 v2, vcc, s0, v2
	v_addc_co_u32_e32 v3, vcc, v4, v3, vcc
	v_lshlrev_b64 v[4:5], 2, v[0:1]
	v_add_u32_e32 v0, s6, v0
	v_add_co_u32_e32 v4, vcc, v2, v4
	v_addc_co_u32_e32 v5, vcc, v3, v5, vcc
	global_store_dword v[4:5], v6, off
	v_lshlrev_b64 v[4:5], 2, v[0:1]
	v_pack_b32_f16 v6, v50, v49
	v_add_co_u32_e32 v4, vcc, v2, v4
	v_addc_co_u32_e32 v5, vcc, v3, v5, vcc
	v_add_u32_e32 v0, s6, v0
	global_store_dword v[4:5], v6, off
	v_lshlrev_b64 v[4:5], 2, v[0:1]
	v_pack_b32_f16 v6, v48, v47
	v_add_co_u32_e32 v4, vcc, v2, v4
	v_addc_co_u32_e32 v5, vcc, v3, v5, vcc
	v_add_u32_e32 v0, s6, v0
	;; [unrolled: 6-line block ×14, first 2 shown]
	global_store_dword v[4:5], v6, off
	v_lshlrev_b64 v[4:5], 2, v[0:1]
	v_add_u32_e32 v0, s6, v0
	v_add_co_u32_e32 v4, vcc, v2, v4
	v_lshlrev_b64 v[0:1], 2, v[0:1]
	v_addc_co_u32_e32 v5, vcc, v3, v5, vcc
	v_add_f16_e32 v37, v93, v37
	v_add_f16_e32 v39, v81, v39
	v_add_co_u32_e32 v0, vcc, v2, v0
	v_pack_b32_f16 v6, v37, v35
	v_addc_co_u32_e32 v1, vcc, v3, v1, vcc
	v_pack_b32_f16 v2, v39, v38
	global_store_dword v[4:5], v6, off
	global_store_dword v[0:1], v2, off
.LBB0_8:
	s_endpgm
	.section	.rodata,"a",@progbits
	.p2align	6, 0x0
	.amdhsa_kernel fft_rtc_fwd_len17_factors_17_wgs_120_tpt_1_half_op_CI_CI_sbrc_z_xy_unaligned_dirReg
		.amdhsa_group_segment_fixed_size 0
		.amdhsa_private_segment_fixed_size 0
		.amdhsa_kernarg_size 104
		.amdhsa_user_sgpr_count 6
		.amdhsa_user_sgpr_private_segment_buffer 1
		.amdhsa_user_sgpr_dispatch_ptr 0
		.amdhsa_user_sgpr_queue_ptr 0
		.amdhsa_user_sgpr_kernarg_segment_ptr 1
		.amdhsa_user_sgpr_dispatch_id 0
		.amdhsa_user_sgpr_flat_scratch_init 0
		.amdhsa_user_sgpr_private_segment_size 0
		.amdhsa_uses_dynamic_stack 0
		.amdhsa_system_sgpr_private_segment_wavefront_offset 0
		.amdhsa_system_sgpr_workgroup_id_x 1
		.amdhsa_system_sgpr_workgroup_id_y 0
		.amdhsa_system_sgpr_workgroup_id_z 0
		.amdhsa_system_sgpr_workgroup_info 0
		.amdhsa_system_vgpr_workitem_id 0
		.amdhsa_next_free_vgpr 94
		.amdhsa_next_free_sgpr 36
		.amdhsa_reserve_vcc 1
		.amdhsa_reserve_flat_scratch 0
		.amdhsa_float_round_mode_32 0
		.amdhsa_float_round_mode_16_64 0
		.amdhsa_float_denorm_mode_32 3
		.amdhsa_float_denorm_mode_16_64 3
		.amdhsa_dx10_clamp 1
		.amdhsa_ieee_mode 1
		.amdhsa_fp16_overflow 0
		.amdhsa_exception_fp_ieee_invalid_op 0
		.amdhsa_exception_fp_denorm_src 0
		.amdhsa_exception_fp_ieee_div_zero 0
		.amdhsa_exception_fp_ieee_overflow 0
		.amdhsa_exception_fp_ieee_underflow 0
		.amdhsa_exception_fp_ieee_inexact 0
		.amdhsa_exception_int_div_zero 0
	.end_amdhsa_kernel
	.text
.Lfunc_end0:
	.size	fft_rtc_fwd_len17_factors_17_wgs_120_tpt_1_half_op_CI_CI_sbrc_z_xy_unaligned_dirReg, .Lfunc_end0-fft_rtc_fwd_len17_factors_17_wgs_120_tpt_1_half_op_CI_CI_sbrc_z_xy_unaligned_dirReg
                                        ; -- End function
	.section	.AMDGPU.csdata,"",@progbits
; Kernel info:
; codeLenInByte = 8504
; NumSgprs: 40
; NumVgprs: 94
; ScratchSize: 0
; MemoryBound: 0
; FloatMode: 240
; IeeeMode: 1
; LDSByteSize: 0 bytes/workgroup (compile time only)
; SGPRBlocks: 4
; VGPRBlocks: 23
; NumSGPRsForWavesPerEU: 40
; NumVGPRsForWavesPerEU: 94
; Occupancy: 2
; WaveLimiterHint : 1
; COMPUTE_PGM_RSRC2:SCRATCH_EN: 0
; COMPUTE_PGM_RSRC2:USER_SGPR: 6
; COMPUTE_PGM_RSRC2:TRAP_HANDLER: 0
; COMPUTE_PGM_RSRC2:TGID_X_EN: 1
; COMPUTE_PGM_RSRC2:TGID_Y_EN: 0
; COMPUTE_PGM_RSRC2:TGID_Z_EN: 0
; COMPUTE_PGM_RSRC2:TIDIG_COMP_CNT: 0
	.type	__hip_cuid_2ef8841d69f2275d,@object ; @__hip_cuid_2ef8841d69f2275d
	.section	.bss,"aw",@nobits
	.globl	__hip_cuid_2ef8841d69f2275d
__hip_cuid_2ef8841d69f2275d:
	.byte	0                               ; 0x0
	.size	__hip_cuid_2ef8841d69f2275d, 1

	.ident	"AMD clang version 19.0.0git (https://github.com/RadeonOpenCompute/llvm-project roc-6.4.0 25133 c7fe45cf4b819c5991fe208aaa96edf142730f1d)"
	.section	".note.GNU-stack","",@progbits
	.addrsig
	.addrsig_sym __hip_cuid_2ef8841d69f2275d
	.amdgpu_metadata
---
amdhsa.kernels:
  - .args:
      - .actual_access:  read_only
        .address_space:  global
        .offset:         0
        .size:           8
        .value_kind:     global_buffer
      - .offset:         8
        .size:           8
        .value_kind:     by_value
      - .actual_access:  read_only
        .address_space:  global
        .offset:         16
        .size:           8
        .value_kind:     global_buffer
      - .actual_access:  read_only
        .address_space:  global
        .offset:         24
        .size:           8
        .value_kind:     global_buffer
      - .actual_access:  read_only
        .address_space:  global
        .offset:         32
        .size:           8
        .value_kind:     global_buffer
      - .offset:         40
        .size:           8
        .value_kind:     by_value
      - .actual_access:  read_only
        .address_space:  global
        .offset:         48
        .size:           8
        .value_kind:     global_buffer
      - .actual_access:  read_only
        .address_space:  global
        .offset:         56
        .size:           8
        .value_kind:     global_buffer
      - .offset:         64
        .size:           4
        .value_kind:     by_value
      - .actual_access:  read_only
        .address_space:  global
        .offset:         72
        .size:           8
        .value_kind:     global_buffer
      - .actual_access:  read_only
        .address_space:  global
        .offset:         80
        .size:           8
        .value_kind:     global_buffer
      - .actual_access:  read_only
        .address_space:  global
        .offset:         88
        .size:           8
        .value_kind:     global_buffer
      - .actual_access:  write_only
        .address_space:  global
        .offset:         96
        .size:           8
        .value_kind:     global_buffer
    .group_segment_fixed_size: 0
    .kernarg_segment_align: 8
    .kernarg_segment_size: 104
    .language:       OpenCL C
    .language_version:
      - 2
      - 0
    .max_flat_workgroup_size: 120
    .name:           fft_rtc_fwd_len17_factors_17_wgs_120_tpt_1_half_op_CI_CI_sbrc_z_xy_unaligned_dirReg
    .private_segment_fixed_size: 0
    .sgpr_count:     40
    .sgpr_spill_count: 0
    .symbol:         fft_rtc_fwd_len17_factors_17_wgs_120_tpt_1_half_op_CI_CI_sbrc_z_xy_unaligned_dirReg.kd
    .uniform_work_group_size: 1
    .uses_dynamic_stack: false
    .vgpr_count:     94
    .vgpr_spill_count: 0
    .wavefront_size: 64
amdhsa.target:   amdgcn-amd-amdhsa--gfx906
amdhsa.version:
  - 1
  - 2
...

	.end_amdgpu_metadata
